;; amdgpu-corpus repo=ROCm/rocFFT kind=compiled arch=gfx906 opt=O3
	.text
	.amdgcn_target "amdgcn-amd-amdhsa--gfx906"
	.amdhsa_code_object_version 6
	.protected	fft_rtc_fwd_len847_factors_11_7_11_wgs_231_tpt_77_halfLds_dp_ip_CI_unitstride_sbrr_dirReg ; -- Begin function fft_rtc_fwd_len847_factors_11_7_11_wgs_231_tpt_77_halfLds_dp_ip_CI_unitstride_sbrr_dirReg
	.globl	fft_rtc_fwd_len847_factors_11_7_11_wgs_231_tpt_77_halfLds_dp_ip_CI_unitstride_sbrr_dirReg
	.p2align	8
	.type	fft_rtc_fwd_len847_factors_11_7_11_wgs_231_tpt_77_halfLds_dp_ip_CI_unitstride_sbrr_dirReg,@function
fft_rtc_fwd_len847_factors_11_7_11_wgs_231_tpt_77_halfLds_dp_ip_CI_unitstride_sbrr_dirReg: ; @fft_rtc_fwd_len847_factors_11_7_11_wgs_231_tpt_77_halfLds_dp_ip_CI_unitstride_sbrr_dirReg
; %bb.0:
	v_mul_u32_u24_e32 v1, 0x354, v0
	s_load_dwordx2 s[2:3], s[4:5], 0x50
	s_load_dwordx4 s[8:11], s[4:5], 0x0
	s_load_dwordx2 s[12:13], s[4:5], 0x18
	v_lshrrev_b32_e32 v1, 16, v1
	v_mad_u64_u32 v[12:13], s[0:1], s6, 3, v[1:2]
	v_mov_b32_e32 v3, 0
	s_waitcnt lgkmcnt(0)
	v_cmp_lt_u64_e64 s[0:1], s[10:11], 2
	v_mov_b32_e32 v13, v3
	v_mov_b32_e32 v1, 0
	;; [unrolled: 1-line block ×3, first 2 shown]
	s_and_b64 vcc, exec, s[0:1]
	v_mov_b32_e32 v2, 0
	v_mov_b32_e32 v8, v13
	s_cbranch_vccnz .LBB0_8
; %bb.1:
	s_load_dwordx2 s[0:1], s[4:5], 0x10
	s_add_u32 s6, s12, 8
	s_addc_u32 s7, s13, 0
	v_mov_b32_e32 v1, 0
	v_mov_b32_e32 v5, v12
	s_waitcnt lgkmcnt(0)
	s_add_u32 s16, s0, 8
	s_mov_b64 s[14:15], 1
	v_mov_b32_e32 v2, 0
	s_addc_u32 s17, s1, 0
	v_mov_b32_e32 v6, v13
.LBB0_2:                                ; =>This Inner Loop Header: Depth=1
	s_load_dwordx2 s[18:19], s[16:17], 0x0
                                        ; implicit-def: $vgpr7_vgpr8
	s_waitcnt lgkmcnt(0)
	v_or_b32_e32 v4, s19, v6
	v_cmp_ne_u64_e32 vcc, 0, v[3:4]
	s_and_saveexec_b64 s[0:1], vcc
	s_xor_b64 s[20:21], exec, s[0:1]
	s_cbranch_execz .LBB0_4
; %bb.3:                                ;   in Loop: Header=BB0_2 Depth=1
	v_cvt_f32_u32_e32 v4, s18
	v_cvt_f32_u32_e32 v7, s19
	s_sub_u32 s0, 0, s18
	s_subb_u32 s1, 0, s19
	v_mac_f32_e32 v4, 0x4f800000, v7
	v_rcp_f32_e32 v4, v4
	v_mul_f32_e32 v4, 0x5f7ffffc, v4
	v_mul_f32_e32 v7, 0x2f800000, v4
	v_trunc_f32_e32 v7, v7
	v_mac_f32_e32 v4, 0xcf800000, v7
	v_cvt_u32_f32_e32 v7, v7
	v_cvt_u32_f32_e32 v4, v4
	v_mul_lo_u32 v8, s0, v7
	v_mul_hi_u32 v9, s0, v4
	v_mul_lo_u32 v11, s1, v4
	v_mul_lo_u32 v10, s0, v4
	v_add_u32_e32 v8, v9, v8
	v_add_u32_e32 v8, v8, v11
	v_mul_hi_u32 v9, v4, v10
	v_mul_lo_u32 v11, v4, v8
	v_mul_hi_u32 v14, v4, v8
	v_mul_hi_u32 v13, v7, v10
	v_mul_lo_u32 v10, v7, v10
	v_mul_hi_u32 v15, v7, v8
	v_add_co_u32_e32 v9, vcc, v9, v11
	v_addc_co_u32_e32 v11, vcc, 0, v14, vcc
	v_mul_lo_u32 v8, v7, v8
	v_add_co_u32_e32 v9, vcc, v9, v10
	v_addc_co_u32_e32 v9, vcc, v11, v13, vcc
	v_addc_co_u32_e32 v10, vcc, 0, v15, vcc
	v_add_co_u32_e32 v8, vcc, v9, v8
	v_addc_co_u32_e32 v9, vcc, 0, v10, vcc
	v_add_co_u32_e32 v4, vcc, v4, v8
	v_addc_co_u32_e32 v7, vcc, v7, v9, vcc
	v_mul_lo_u32 v8, s0, v7
	v_mul_hi_u32 v9, s0, v4
	v_mul_lo_u32 v10, s1, v4
	v_mul_lo_u32 v11, s0, v4
	v_add_u32_e32 v8, v9, v8
	v_add_u32_e32 v8, v8, v10
	v_mul_lo_u32 v13, v4, v8
	v_mul_hi_u32 v14, v4, v11
	v_mul_hi_u32 v15, v4, v8
	;; [unrolled: 1-line block ×3, first 2 shown]
	v_mul_lo_u32 v11, v7, v11
	v_mul_hi_u32 v9, v7, v8
	v_add_co_u32_e32 v13, vcc, v14, v13
	v_addc_co_u32_e32 v14, vcc, 0, v15, vcc
	v_mul_lo_u32 v8, v7, v8
	v_add_co_u32_e32 v11, vcc, v13, v11
	v_addc_co_u32_e32 v10, vcc, v14, v10, vcc
	v_addc_co_u32_e32 v9, vcc, 0, v9, vcc
	v_add_co_u32_e32 v8, vcc, v10, v8
	v_addc_co_u32_e32 v9, vcc, 0, v9, vcc
	v_add_co_u32_e32 v4, vcc, v4, v8
	v_addc_co_u32_e32 v9, vcc, v7, v9, vcc
	v_mad_u64_u32 v[7:8], s[0:1], v5, v9, 0
	v_mul_hi_u32 v10, v5, v4
	v_add_co_u32_e32 v11, vcc, v10, v7
	v_addc_co_u32_e32 v13, vcc, 0, v8, vcc
	v_mad_u64_u32 v[7:8], s[0:1], v6, v4, 0
	v_mad_u64_u32 v[9:10], s[0:1], v6, v9, 0
	v_add_co_u32_e32 v4, vcc, v11, v7
	v_addc_co_u32_e32 v4, vcc, v13, v8, vcc
	v_addc_co_u32_e32 v7, vcc, 0, v10, vcc
	v_add_co_u32_e32 v4, vcc, v4, v9
	v_addc_co_u32_e32 v9, vcc, 0, v7, vcc
	v_mul_lo_u32 v10, s19, v4
	v_mul_lo_u32 v11, s18, v9
	v_mad_u64_u32 v[7:8], s[0:1], s18, v4, 0
	v_add3_u32 v8, v8, v11, v10
	v_sub_u32_e32 v10, v6, v8
	v_mov_b32_e32 v11, s19
	v_sub_co_u32_e32 v7, vcc, v5, v7
	v_subb_co_u32_e64 v10, s[0:1], v10, v11, vcc
	v_subrev_co_u32_e64 v11, s[0:1], s18, v7
	v_subbrev_co_u32_e64 v10, s[0:1], 0, v10, s[0:1]
	v_cmp_le_u32_e64 s[0:1], s19, v10
	v_cndmask_b32_e64 v13, 0, -1, s[0:1]
	v_cmp_le_u32_e64 s[0:1], s18, v11
	v_cndmask_b32_e64 v11, 0, -1, s[0:1]
	v_cmp_eq_u32_e64 s[0:1], s19, v10
	v_cndmask_b32_e64 v10, v13, v11, s[0:1]
	v_add_co_u32_e64 v11, s[0:1], 2, v4
	v_addc_co_u32_e64 v13, s[0:1], 0, v9, s[0:1]
	v_add_co_u32_e64 v14, s[0:1], 1, v4
	v_addc_co_u32_e64 v15, s[0:1], 0, v9, s[0:1]
	v_subb_co_u32_e32 v8, vcc, v6, v8, vcc
	v_cmp_ne_u32_e64 s[0:1], 0, v10
	v_cmp_le_u32_e32 vcc, s19, v8
	v_cndmask_b32_e64 v10, v15, v13, s[0:1]
	v_cndmask_b32_e64 v13, 0, -1, vcc
	v_cmp_le_u32_e32 vcc, s18, v7
	v_cndmask_b32_e64 v7, 0, -1, vcc
	v_cmp_eq_u32_e32 vcc, s19, v8
	v_cndmask_b32_e32 v7, v13, v7, vcc
	v_cmp_ne_u32_e32 vcc, 0, v7
	v_cndmask_b32_e64 v7, v14, v11, s[0:1]
	v_cndmask_b32_e32 v8, v9, v10, vcc
	v_cndmask_b32_e32 v7, v4, v7, vcc
.LBB0_4:                                ;   in Loop: Header=BB0_2 Depth=1
	s_andn2_saveexec_b64 s[0:1], s[20:21]
	s_cbranch_execz .LBB0_6
; %bb.5:                                ;   in Loop: Header=BB0_2 Depth=1
	v_cvt_f32_u32_e32 v4, s18
	s_sub_i32 s20, 0, s18
	v_rcp_iflag_f32_e32 v4, v4
	v_mul_f32_e32 v4, 0x4f7ffffe, v4
	v_cvt_u32_f32_e32 v4, v4
	v_mul_lo_u32 v7, s20, v4
	v_mul_hi_u32 v7, v4, v7
	v_add_u32_e32 v4, v4, v7
	v_mul_hi_u32 v4, v5, v4
	v_mul_lo_u32 v7, v4, s18
	v_add_u32_e32 v8, 1, v4
	v_sub_u32_e32 v7, v5, v7
	v_subrev_u32_e32 v9, s18, v7
	v_cmp_le_u32_e32 vcc, s18, v7
	v_cndmask_b32_e32 v7, v7, v9, vcc
	v_cndmask_b32_e32 v4, v4, v8, vcc
	v_add_u32_e32 v8, 1, v4
	v_cmp_le_u32_e32 vcc, s18, v7
	v_cndmask_b32_e32 v7, v4, v8, vcc
	v_mov_b32_e32 v8, v3
.LBB0_6:                                ;   in Loop: Header=BB0_2 Depth=1
	s_or_b64 exec, exec, s[0:1]
	v_mul_lo_u32 v4, v8, s18
	v_mul_lo_u32 v11, v7, s19
	v_mad_u64_u32 v[9:10], s[0:1], v7, s18, 0
	s_load_dwordx2 s[0:1], s[6:7], 0x0
	s_add_u32 s14, s14, 1
	v_add3_u32 v4, v10, v11, v4
	v_sub_co_u32_e32 v5, vcc, v5, v9
	v_subb_co_u32_e32 v4, vcc, v6, v4, vcc
	s_waitcnt lgkmcnt(0)
	v_mul_lo_u32 v4, s0, v4
	v_mul_lo_u32 v6, s1, v5
	v_mad_u64_u32 v[1:2], s[0:1], s0, v5, v[1:2]
	s_addc_u32 s15, s15, 0
	s_add_u32 s6, s6, 8
	v_add3_u32 v2, v6, v2, v4
	v_mov_b32_e32 v4, s10
	v_mov_b32_e32 v5, s11
	s_addc_u32 s7, s7, 0
	v_cmp_ge_u64_e32 vcc, s[14:15], v[4:5]
	s_add_u32 s16, s16, 8
	s_addc_u32 s17, s17, 0
	s_cbranch_vccnz .LBB0_8
; %bb.7:                                ;   in Loop: Header=BB0_2 Depth=1
	v_mov_b32_e32 v5, v7
	v_mov_b32_e32 v6, v8
	s_branch .LBB0_2
.LBB0_8:
	s_lshl_b64 s[0:1], s[10:11], 3
	s_add_u32 s0, s12, s0
	s_addc_u32 s1, s13, s1
	s_load_dwordx2 s[6:7], s[0:1], 0x0
	s_load_dwordx2 s[10:11], s[4:5], 0x20
	v_mov_b32_e32 v66, 0
	v_mov_b32_e32 v67, 0
                                        ; implicit-def: $vgpr26_vgpr27
                                        ; implicit-def: $vgpr30_vgpr31
                                        ; implicit-def: $vgpr34_vgpr35
                                        ; implicit-def: $vgpr18_vgpr19
                                        ; implicit-def: $vgpr10_vgpr11
                                        ; implicit-def: $vgpr22_vgpr23
                                        ; implicit-def: $vgpr42_vgpr43
                                        ; implicit-def: $vgpr46_vgpr47
                                        ; implicit-def: $vgpr38_vgpr39
	s_waitcnt lgkmcnt(0)
	v_mad_u64_u32 v[1:2], s[0:1], s6, v7, v[1:2]
	v_mul_lo_u32 v3, s6, v8
	v_mul_lo_u32 v4, s7, v7
	s_mov_b32 s0, 0x3531ded
	v_mul_hi_u32 v5, v0, s0
	v_cmp_gt_u64_e64 s[0:1], s[10:11], v[7:8]
	v_add3_u32 v2, v4, v2, v3
	v_lshlrev_b64 v[64:65], 4, v[1:2]
	v_mul_u32_u24_e32 v3, 0x4d, v5
	v_sub_u32_e32 v68, v0, v3
                                        ; implicit-def: $vgpr6_vgpr7
                                        ; implicit-def: $vgpr2_vgpr3
	s_and_saveexec_b64 s[4:5], s[0:1]
	s_cbranch_execz .LBB0_10
; %bb.9:
	v_mov_b32_e32 v69, 0
	v_mov_b32_e32 v0, s3
	v_add_co_u32_e32 v2, vcc, s2, v64
	v_addc_co_u32_e32 v3, vcc, v0, v65, vcc
	v_lshlrev_b64 v[0:1], 4, v[68:69]
	s_movk_i32 s6, 0x1000
	v_add_co_u32_e32 v13, vcc, v2, v0
	v_addc_co_u32_e32 v14, vcc, v3, v1, vcc
	v_add_co_u32_e32 v48, vcc, s6, v13
	v_addc_co_u32_e32 v49, vcc, 0, v14, vcc
	s_movk_i32 s6, 0x2000
	v_add_co_u32_e32 v50, vcc, s6, v13
	v_addc_co_u32_e32 v51, vcc, 0, v14, vcc
	v_add_co_u32_e32 v52, vcc, 0x3000, v13
	global_load_dwordx4 v[0:3], v[13:14], off
	global_load_dwordx4 v[36:39], v[13:14], off offset:1232
	v_addc_co_u32_e32 v53, vcc, 0, v14, vcc
	global_load_dwordx4 v[44:47], v[13:14], off offset:2464
	global_load_dwordx4 v[40:43], v[13:14], off offset:3696
	global_load_dwordx4 v[20:23], v[48:49], off offset:832
	global_load_dwordx4 v[8:11], v[48:49], off offset:2064
	global_load_dwordx4 v[4:7], v[48:49], off offset:3296
	global_load_dwordx4 v[16:19], v[50:51], off offset:432
	global_load_dwordx4 v[32:35], v[50:51], off offset:1664
	global_load_dwordx4 v[28:31], v[50:51], off offset:2896
	global_load_dwordx4 v[24:27], v[52:53], off offset:32
	v_mov_b32_e32 v66, v68
	v_mov_b32_e32 v67, v69
.LBB0_10:
	s_or_b64 exec, exec, s[4:5]
	s_waitcnt vmcnt(9)
	v_add_f64 v[13:14], v[36:37], v[0:1]
	s_mov_b32 s18, 0xaaaaaaab
	v_mul_hi_u32 v15, v12, s18
	s_waitcnt vmcnt(0)
	v_add_f64 v[48:49], v[24:25], v[36:37]
	s_mov_b32 s4, 0x8764f0ba
	s_mov_b32 s6, 0xd9c712b6
	v_lshrrev_b32_e32 v15, 1, v15
	v_lshl_add_u32 v15, v15, 1, v15
	v_add_f64 v[13:14], v[44:45], v[13:14]
	v_sub_u32_e32 v12, v12, v15
	v_mul_u32_u24_e32 v77, 0x34f, v12
	s_mov_b32 s10, 0x640f44db
	s_mov_b32 s5, 0x3feaeb8c
	;; [unrolled: 1-line block ×4, first 2 shown]
	v_add_f64 v[50:51], v[38:39], -v[26:27]
	v_add_f64 v[13:14], v[40:41], v[13:14]
	v_add_f64 v[52:53], v[28:29], v[44:45]
	v_mul_f64 v[56:57], v[48:49], s[4:5]
	v_mul_f64 v[58:59], v[48:49], s[6:7]
	s_mov_b32 s14, 0xf8bb580b
	s_mov_b32 s16, 0x8eee2c13
	;; [unrolled: 1-line block ×4, first 2 shown]
	v_add_f64 v[13:14], v[20:21], v[13:14]
	s_mov_b32 s24, 0x9bcd5057
	s_mov_b32 s15, 0x3fe14ced
	;; [unrolled: 1-line block ×7, first 2 shown]
	v_add_f64 v[13:14], v[8:9], v[13:14]
	s_mov_b32 s22, s14
	v_add_f64 v[54:55], v[46:47], -v[30:31]
	v_mul_f64 v[60:61], v[48:49], s[12:13]
	v_mul_f64 v[62:63], v[52:53], s[6:7]
	v_fma_f64 v[71:72], v[50:51], s[14:15], v[56:57]
	v_fma_f64 v[56:57], v[50:51], s[22:23], v[56:57]
	;; [unrolled: 1-line block ×3, first 2 shown]
	v_add_f64 v[13:14], v[4:5], v[13:14]
	s_mov_b32 s36, 0xbb3a28a1
	s_mov_b32 s30, 0xfd768dbf
	;; [unrolled: 1-line block ×7, first 2 shown]
	v_add_f64 v[12:13], v[16:17], v[13:14]
	v_mul_f64 v[14:15], v[48:49], s[10:11]
	v_mul_f64 v[48:49], v[48:49], s[24:25]
	s_mov_b32 s27, 0xbfd207e7
	s_mov_b32 s34, s16
	;; [unrolled: 1-line block ×5, first 2 shown]
	v_add_f64 v[12:13], v[32:33], v[12:13]
	v_fma_f64 v[75:76], v[50:51], s[28:29], v[14:15]
	v_mul_f64 v[69:70], v[52:53], s[12:13]
	v_fma_f64 v[58:59], v[50:51], s[34:35], v[58:59]
	v_fma_f64 v[14:15], v[50:51], s[18:19], v[14:15]
	;; [unrolled: 1-line block ×5, first 2 shown]
	v_add_f64 v[12:13], v[28:29], v[12:13]
	v_fma_f64 v[48:49], v[50:51], s[26:27], v[48:49]
	v_add_f64 v[50:51], v[0:1], v[71:72]
	v_add_f64 v[56:57], v[0:1], v[56:57]
	;; [unrolled: 1-line block ×7, first 2 shown]
	v_fma_f64 v[12:13], v[54:55], s[16:17], v[62:63]
	v_fma_f64 v[62:63], v[54:55], s[34:35], v[62:63]
	v_add_f64 v[78:79], v[0:1], v[78:79]
	v_add_f64 v[60:61], v[0:1], v[60:61]
	;; [unrolled: 1-line block ×3, first 2 shown]
	v_mul_f64 v[82:83], v[52:53], s[24:25]
	v_fma_f64 v[84:85], v[54:55], s[36:37], v[69:70]
	v_add_f64 v[0:1], v[0:1], v[48:49]
	v_add_f64 v[12:13], v[12:13], v[50:51]
	v_fma_f64 v[48:49], v[54:55], s[20:21], v[69:70]
	v_mul_f64 v[50:51], v[52:53], s[10:11]
	v_add_f64 v[56:57], v[62:63], v[56:57]
	v_add_f64 v[62:63], v[32:33], v[40:41]
	v_fma_f64 v[69:70], v[54:55], s[26:27], v[82:83]
	v_add_f64 v[71:72], v[84:85], v[71:72]
	v_mul_f64 v[52:53], v[52:53], s[4:5]
	v_fma_f64 v[82:83], v[54:55], s[30:31], v[82:83]
	v_add_f64 v[48:49], v[48:49], v[58:59]
	v_fma_f64 v[58:59], v[54:55], s[18:19], v[50:51]
	v_add_f64 v[84:85], v[42:43], -v[34:35]
	v_mul_f64 v[86:87], v[62:63], s[10:11]
	v_add_f64 v[69:70], v[69:70], v[73:74]
	v_fma_f64 v[50:51], v[54:55], s[28:29], v[50:51]
	v_fma_f64 v[73:74], v[54:55], s[22:23], v[52:53]
	v_add_f64 v[14:15], v[82:83], v[14:15]
	v_mul_f64 v[82:83], v[62:63], s[24:25]
	v_add_f64 v[58:59], v[58:59], v[78:79]
	v_fma_f64 v[52:53], v[54:55], s[14:15], v[52:53]
	v_fma_f64 v[54:55], v[84:85], s[28:29], v[86:87]
	;; [unrolled: 1-line block ×3, first 2 shown]
	v_add_f64 v[50:51], v[50:51], v[60:61]
	v_add_f64 v[60:61], v[73:74], v[80:81]
	v_mul_f64 v[73:74], v[62:63], s[6:7]
	v_fma_f64 v[80:81], v[84:85], s[26:27], v[82:83]
	v_fma_f64 v[82:83], v[84:85], s[30:31], v[82:83]
	v_add_f64 v[0:1], v[52:53], v[0:1]
	v_add_f64 v[12:13], v[54:55], v[12:13]
	;; [unrolled: 1-line block ×4, first 2 shown]
	v_mul_f64 v[56:57], v[62:63], s[4:5]
	v_mul_f64 v[62:63], v[62:63], s[12:13]
	v_fma_f64 v[78:79], v[84:85], s[34:35], v[73:74]
	v_add_f64 v[71:72], v[80:81], v[71:72]
	v_add_f64 v[48:49], v[82:83], v[48:49]
	v_fma_f64 v[73:74], v[84:85], s[16:17], v[73:74]
	v_add_f64 v[80:81], v[22:23], -v[18:19]
	v_mul_f64 v[82:83], v[54:55], s[12:13]
	v_fma_f64 v[86:87], v[84:85], s[14:15], v[56:57]
	v_fma_f64 v[56:57], v[84:85], s[22:23], v[56:57]
	;; [unrolled: 1-line block ×3, first 2 shown]
	v_add_f64 v[69:70], v[78:79], v[69:70]
	v_mul_f64 v[78:79], v[54:55], s[10:11]
	v_add_f64 v[14:15], v[73:74], v[14:15]
	v_fma_f64 v[62:63], v[84:85], s[20:21], v[62:63]
	v_fma_f64 v[73:74], v[80:81], s[36:37], v[82:83]
	;; [unrolled: 1-line block ×3, first 2 shown]
	v_add_f64 v[50:51], v[56:57], v[50:51]
	v_add_f64 v[56:57], v[88:89], v[60:61]
	v_mul_f64 v[60:61], v[54:55], s[4:5]
	v_fma_f64 v[84:85], v[80:81], s[18:19], v[78:79]
	v_fma_f64 v[78:79], v[80:81], s[28:29], v[78:79]
	v_add_f64 v[0:1], v[62:63], v[0:1]
	v_add_f64 v[12:13], v[73:74], v[12:13]
	v_mul_f64 v[62:63], v[54:55], s[24:25]
	v_add_f64 v[52:53], v[82:83], v[52:53]
	v_add_f64 v[73:74], v[4:5], v[8:9]
	v_fma_f64 v[82:83], v[80:81], s[14:15], v[60:61]
	v_mul_f64 v[54:55], v[54:55], s[6:7]
	v_add_f64 v[58:59], v[86:87], v[58:59]
	v_add_f64 v[71:72], v[84:85], v[71:72]
	v_fma_f64 v[60:61], v[80:81], s[22:23], v[60:61]
	v_fma_f64 v[84:85], v[80:81], s[30:31], v[62:63]
	;; [unrolled: 1-line block ×3, first 2 shown]
	v_add_f64 v[86:87], v[10:11], -v[6:7]
	v_mul_f64 v[88:89], v[73:74], s[24:25]
	v_add_f64 v[48:49], v[78:79], v[48:49]
	v_add_f64 v[78:79], v[82:83], v[69:70]
	v_fma_f64 v[69:70], v[80:81], s[34:35], v[54:55]
	v_add_f64 v[60:61], v[60:61], v[14:15]
	v_fma_f64 v[14:15], v[80:81], s[16:17], v[54:55]
	v_add_f64 v[50:51], v[62:63], v[50:51]
	v_mul_f64 v[80:81], v[73:74], s[4:5]
	v_fma_f64 v[54:55], v[86:87], s[30:31], v[88:89]
	v_fma_f64 v[62:63], v[86:87], s[26:27], v[88:89]
	v_mul_f64 v[82:83], v[73:74], s[6:7]
	v_add_f64 v[56:57], v[69:70], v[56:57]
	v_mul_f64 v[69:70], v[73:74], s[12:13]
	v_mul_f64 v[73:74], v[73:74], s[10:11]
	v_add_f64 v[0:1], v[14:15], v[0:1]
	v_add_f64 v[58:59], v[84:85], v[58:59]
	;; [unrolled: 1-line block ×4, first 2 shown]
	v_fma_f64 v[12:13], v[86:87], s[22:23], v[80:81]
	v_fma_f64 v[52:53], v[86:87], s[14:15], v[80:81]
	;; [unrolled: 1-line block ×8, first 2 shown]
	v_add_f64 v[88:89], v[12:13], v[71:72]
	v_add_f64 v[69:70], v[52:53], v[48:49]
	;; [unrolled: 1-line block ×8, first 2 shown]
	v_lshl_add_u32 v56, v77, 3, 0
	s_movk_i32 s33, 0x58
	v_mad_u32_u24 v78, v68, s33, v56
	s_movk_i32 s33, 0xffb0
	v_mad_i32_i24 v79, v68, s33, v78
	v_lshl_add_u32 v81, v68, 3, v56
	v_add_u32_e32 v80, 0x800, v79
	v_add_u32_e32 v82, 0x1000, v79
	ds_write2_b64 v78, v[75:76], v[54:55] offset1:1
	ds_write2_b64 v78, v[88:89], v[48:49] offset0:2 offset1:3
	ds_write2_b64 v78, v[52:53], v[50:51] offset0:4 offset1:5
	;; [unrolled: 1-line block ×4, first 2 shown]
	ds_write_b64 v78, v[14:15] offset:80
	s_waitcnt lgkmcnt(0)
	s_barrier
	ds_read_b64 v[73:74], v81
	ds_read2_b64 v[56:59], v79 offset0:121 offset1:242
	ds_read2_b64 v[52:55], v80 offset0:107 offset1:228
	;; [unrolled: 1-line block ×3, first 2 shown]
	v_cmp_gt_u32_e32 vcc, 44, v68
                                        ; implicit-def: $vgpr75_vgpr76
                                        ; implicit-def: $vgpr50_vgpr51
	s_and_saveexec_b64 s[36:37], vcc
	s_cbranch_execz .LBB0_12
; %bb.11:
	ds_read2_b64 v[12:15], v80 offset0:63 offset1:184
	ds_read2_b64 v[83:86], v79 offset0:77 offset1:198
	;; [unrolled: 1-line block ×3, first 2 shown]
	ds_read_b64 v[75:76], v79 offset:6424
	s_waitcnt lgkmcnt(3)
	v_mov_b32_e32 v70, v13
	v_mov_b32_e32 v69, v12
	s_waitcnt lgkmcnt(2)
	v_mov_b32_e32 v71, v85
	v_mov_b32_e32 v12, v83
	v_mov_b32_e32 v72, v86
	v_mov_b32_e32 v13, v84
.LBB0_12:
	s_or_b64 exec, exec, s[36:37]
	v_add_f64 v[0:1], v[38:39], v[2:3]
	v_add_f64 v[24:25], v[36:37], -v[24:25]
	v_add_f64 v[36:37], v[26:27], v[38:39]
	v_add_f64 v[38:39], v[30:31], v[46:47]
	v_add_f64 v[28:29], v[44:45], -v[28:29]
	v_add_f64 v[32:33], v[40:41], -v[32:33]
	v_add_f64 v[44:45], v[34:35], v[42:43]
	v_add_f64 v[16:17], v[20:21], -v[16:17]
	v_add_f64 v[0:1], v[46:47], v[0:1]
	v_mul_f64 v[40:41], v[24:25], s[22:23]
	v_mul_f64 v[46:47], v[24:25], s[34:35]
	;; [unrolled: 1-line block ×7, first 2 shown]
	v_add_f64 v[0:1], v[42:43], v[0:1]
	v_mul_f64 v[91:92], v[28:29], s[30:31]
	v_mul_f64 v[42:43], v[28:29], s[28:29]
	;; [unrolled: 1-line block ×3, first 2 shown]
	v_fma_f64 v[99:100], v[36:37], s[4:5], v[40:41]
	v_fma_f64 v[40:41], v[36:37], s[4:5], -v[40:41]
	v_fma_f64 v[101:102], v[36:37], s[6:7], v[46:47]
	v_fma_f64 v[46:47], v[36:37], s[6:7], -v[46:47]
	v_add_f64 v[0:1], v[22:23], v[0:1]
	v_fma_f64 v[103:104], v[36:37], s[10:11], v[83:84]
	v_fma_f64 v[83:84], v[36:37], s[10:11], -v[83:84]
	v_fma_f64 v[105:106], v[36:37], s[12:13], v[85:86]
	v_fma_f64 v[85:86], v[36:37], s[12:13], -v[85:86]
	;; [unrolled: 2-line block ×3, first 2 shown]
	v_mul_f64 v[93:94], v[32:33], s[18:19]
	v_add_f64 v[0:1], v[10:11], v[0:1]
	v_mul_f64 v[95:96], v[32:33], s[30:31]
	v_mul_f64 v[97:98], v[32:33], s[16:17]
	v_fma_f64 v[36:37], v[38:39], s[6:7], v[87:88]
	v_fma_f64 v[87:88], v[38:39], s[6:7], -v[87:88]
	v_fma_f64 v[109:110], v[38:39], s[12:13], v[89:90]
	v_fma_f64 v[89:90], v[38:39], s[12:13], -v[89:90]
	v_fma_f64 v[111:112], v[38:39], s[24:25], v[91:92]
	v_add_f64 v[0:1], v[6:7], v[0:1]
	v_fma_f64 v[115:116], v[38:39], s[4:5], v[28:29]
	v_fma_f64 v[28:29], v[38:39], s[4:5], -v[28:29]
	v_add_f64 v[99:100], v[2:3], v[99:100]
	v_add_f64 v[40:41], v[2:3], v[40:41]
	;; [unrolled: 1-line block ×8, first 2 shown]
	v_fma_f64 v[91:92], v[38:39], s[24:25], -v[91:92]
	v_fma_f64 v[113:114], v[38:39], s[10:11], v[42:43]
	v_fma_f64 v[42:43], v[38:39], s[10:11], -v[42:43]
	v_fma_f64 v[38:39], v[44:45], s[10:11], v[93:94]
	v_fma_f64 v[93:94], v[44:45], s[10:11], -v[93:94]
	v_add_f64 v[0:1], v[34:35], v[0:1]
	v_add_f64 v[34:35], v[2:3], v[105:106]
	;; [unrolled: 1-line block ×4, first 2 shown]
	v_fma_f64 v[117:118], v[44:45], s[24:25], v[95:96]
	v_add_f64 v[24:25], v[36:37], v[99:100]
	v_add_f64 v[36:37], v[87:88], v[40:41]
	;; [unrolled: 1-line block ×7, first 2 shown]
	v_mul_f64 v[20:21], v[32:33], s[22:23]
	v_fma_f64 v[28:29], v[44:45], s[6:7], v[97:98]
	v_mul_f64 v[32:33], v[32:33], s[20:21]
	v_add_f64 v[83:84], v[91:92], v[83:84]
	v_add_f64 v[34:35], v[113:114], v[34:35]
	;; [unrolled: 1-line block ×6, first 2 shown]
	v_fma_f64 v[38:39], v[44:45], s[6:7], -v[97:98]
	v_add_f64 v[18:19], v[18:19], v[22:23]
	v_mul_f64 v[22:23], v[16:17], s[20:21]
	v_fma_f64 v[40:41], v[44:45], s[4:5], v[20:21]
	v_add_f64 v[28:29], v[28:29], v[46:47]
	v_mul_f64 v[46:47], v[16:17], s[28:29]
	v_fma_f64 v[87:88], v[44:45], s[12:13], v[32:33]
	v_fma_f64 v[32:33], v[44:45], s[12:13], -v[32:33]
	v_fma_f64 v[95:96], v[44:45], s[24:25], -v[95:96]
	v_add_f64 v[42:43], v[42:43], v[85:86]
	v_fma_f64 v[20:21], v[44:45], s[4:5], -v[20:21]
	v_add_f64 v[38:39], v[38:39], v[83:84]
	v_fma_f64 v[44:45], v[18:19], s[12:13], v[22:23]
	v_add_f64 v[34:35], v[40:41], v[34:35]
	v_fma_f64 v[22:23], v[18:19], s[12:13], -v[22:23]
	v_fma_f64 v[40:41], v[18:19], s[10:11], v[46:47]
	v_mul_f64 v[83:84], v[16:17], s[22:23]
	v_add_f64 v[2:3], v[32:33], v[2:3]
	v_mul_f64 v[32:33], v[16:17], s[26:27]
	v_add_f64 v[4:5], v[8:9], -v[4:5]
	v_add_f64 v[30:31], v[95:96], v[30:31]
	v_add_f64 v[20:21], v[20:21], v[42:43]
	;; [unrolled: 1-line block ×5, first 2 shown]
	v_fma_f64 v[8:9], v[18:19], s[10:11], -v[46:47]
	v_fma_f64 v[36:37], v[18:19], s[4:5], v[83:84]
	v_mul_f64 v[16:17], v[16:17], s[16:17]
	v_fma_f64 v[40:41], v[18:19], s[4:5], -v[83:84]
	v_fma_f64 v[44:45], v[18:19], s[24:25], v[32:33]
	v_fma_f64 v[32:33], v[18:19], s[24:25], -v[32:33]
	v_add_f64 v[6:7], v[6:7], v[10:11]
	v_mul_f64 v[10:11], v[4:5], s[26:27]
	v_add_f64 v[85:86], v[115:116], v[105:106]
	v_add_f64 v[8:9], v[8:9], v[30:31]
	;; [unrolled: 1-line block ×3, first 2 shown]
	v_fma_f64 v[30:31], v[18:19], s[6:7], v[16:17]
	v_add_f64 v[36:37], v[40:41], v[38:39]
	v_fma_f64 v[16:17], v[18:19], s[6:7], -v[16:17]
	v_add_f64 v[18:19], v[32:33], v[20:21]
	v_fma_f64 v[20:21], v[6:7], s[24:25], v[10:11]
	v_fma_f64 v[10:11], v[6:7], s[24:25], -v[10:11]
	v_mul_f64 v[32:33], v[4:5], s[14:15]
	v_mul_f64 v[38:39], v[4:5], s[20:21]
	v_add_f64 v[42:43], v[87:88], v[85:86]
	v_mul_f64 v[40:41], v[4:5], s[16:17]
	v_mul_f64 v[4:5], v[4:5], s[18:19]
	v_add_f64 v[16:17], v[16:17], v[2:3]
	v_add_f64 v[20:21], v[20:21], v[0:1]
	;; [unrolled: 1-line block ×3, first 2 shown]
	v_fma_f64 v[0:1], v[6:7], s[4:5], v[32:33]
	v_fma_f64 v[10:11], v[6:7], s[4:5], -v[32:33]
	v_fma_f64 v[22:23], v[6:7], s[12:13], v[38:39]
	v_add_f64 v[34:35], v[44:45], v[34:35]
	v_add_f64 v[30:31], v[30:31], v[42:43]
	v_fma_f64 v[32:33], v[6:7], s[6:7], v[40:41]
	v_fma_f64 v[40:41], v[6:7], s[6:7], -v[40:41]
	v_fma_f64 v[42:43], v[6:7], s[10:11], v[4:5]
	v_fma_f64 v[4:5], v[6:7], s[10:11], -v[4:5]
	v_fma_f64 v[6:7], v[6:7], s[12:13], -v[38:39]
	v_add_f64 v[38:39], v[0:1], v[24:25]
	v_add_f64 v[0:1], v[10:11], v[8:9]
	;; [unrolled: 1-line block ×8, first 2 shown]
	s_waitcnt lgkmcnt(0)
	s_barrier
	ds_write2_b64 v78, v[26:27], v[20:21] offset1:1
	ds_write2_b64 v78, v[38:39], v[8:9] offset0:2 offset1:3
	ds_write2_b64 v78, v[10:11], v[18:19] offset0:4 offset1:5
	;; [unrolled: 1-line block ×4, first 2 shown]
	ds_write_b64 v78, v[2:3] offset:80
	s_waitcnt lgkmcnt(0)
	s_barrier
	ds_read_b64 v[26:27], v81
	ds_read2_b64 v[20:23], v79 offset0:121 offset1:242
	ds_read2_b64 v[8:11], v80 offset0:107 offset1:228
	ds_read2_b64 v[16:19], v82 offset0:93 offset1:214
                                        ; implicit-def: $vgpr28_vgpr29
                                        ; implicit-def: $vgpr6_vgpr7
	s_and_saveexec_b64 s[4:5], vcc
	s_cbranch_execz .LBB0_14
; %bb.13:
	ds_read2_b64 v[30:33], v79 offset0:77 offset1:198
	v_add_u32_e32 v0, 0x800, v79
	v_add_u32_e32 v4, 0x1000, v79
	ds_read2_b64 v[0:3], v0 offset0:63 offset1:184
	ds_read_b64 v[28:29], v79 offset:6424
	ds_read2_b64 v[4:7], v4 offset0:49 offset1:170
	s_waitcnt lgkmcnt(3)
	v_mov_b32_e32 v24, v30
	v_mov_b32_e32 v25, v31
	;; [unrolled: 1-line block ×4, first 2 shown]
.LBB0_14:
	s_or_b64 exec, exec, s[4:5]
	s_movk_i32 s4, 0x75
	v_mul_lo_u16_sdwa v32, v68, s4 dst_sel:DWORD dst_unused:UNUSED_PAD src0_sel:BYTE_0 src1_sel:DWORD
	v_sub_u16_sdwa v33, v68, v32 dst_sel:DWORD dst_unused:UNUSED_PAD src0_sel:DWORD src1_sel:BYTE_1
	v_lshrrev_b16_e32 v33, 1, v33
	v_and_b32_e32 v33, 0x7f, v33
	v_add_u16_sdwa v32, v33, v32 dst_sel:DWORD dst_unused:UNUSED_PAD src0_sel:DWORD src1_sel:BYTE_1
	v_lshrrev_b16_e32 v78, 3, v32
	v_mul_lo_u16_e32 v32, 11, v78
	v_sub_u16_e32 v79, v68, v32
	v_mov_b32_e32 v80, 6
	v_mul_u32_u24_sdwa v32, v79, v80 dst_sel:DWORD dst_unused:UNUSED_PAD src0_sel:BYTE_0 src1_sel:DWORD
	v_lshlrev_b32_e32 v82, 4, v32
	global_load_dwordx4 v[32:35], v82, s[8:9]
	global_load_dwordx4 v[36:39], v82, s[8:9] offset:16
	global_load_dwordx4 v[40:43], v82, s[8:9] offset:48
	;; [unrolled: 1-line block ×5, first 2 shown]
	v_add_u16_e32 v83, 0x4d, v68
	v_mul_lo_u16_sdwa v82, v83, s4 dst_sel:DWORD dst_unused:UNUSED_PAD src0_sel:BYTE_0 src1_sel:DWORD
	v_sub_u16_sdwa v84, v83, v82 dst_sel:DWORD dst_unused:UNUSED_PAD src0_sel:DWORD src1_sel:BYTE_1
	v_lshrrev_b16_e32 v84, 1, v84
	v_and_b32_e32 v84, 0x7f, v84
	v_add_u16_sdwa v82, v84, v82 dst_sel:DWORD dst_unused:UNUSED_PAD src0_sel:DWORD src1_sel:BYTE_1
	v_lshrrev_b16_e32 v82, 3, v82
	v_mul_lo_u16_e32 v84, 11, v82
	v_sub_u16_e32 v83, v83, v84
	v_mul_u32_u24_sdwa v80, v83, v80 dst_sel:DWORD dst_unused:UNUSED_PAD src0_sel:BYTE_0 src1_sel:DWORD
	v_lshlrev_b32_e32 v80, 4, v80
	global_load_dwordx4 v[95:98], v80, s[8:9]
	global_load_dwordx4 v[99:102], v80, s[8:9] offset:16
	global_load_dwordx4 v[103:106], v80, s[8:9] offset:32
	;; [unrolled: 1-line block ×5, first 2 shown]
	s_movk_i32 s28, 0x268
	v_mov_b32_e32 v86, 3
	v_lshlrev_b32_e32 v84, 3, v77
	v_mad_u32_u24 v77, v78, s28, 0
	v_lshlrev_b32_sdwa v78, v86, v79 dst_sel:DWORD dst_unused:UNUSED_PAD src0_sel:DWORD src1_sel:BYTE_0
	v_add3_u32 v85, v77, v78, v84
	s_mov_b32 s6, 0x37e14327
	s_mov_b32 s12, 0xe976ee23
	;; [unrolled: 1-line block ×20, first 2 shown]
	s_waitcnt vmcnt(0) lgkmcnt(0)
	s_barrier
	v_mul_f64 v[77:78], v[20:21], v[34:35]
	v_mul_f64 v[34:35], v[56:57], v[34:35]
	v_mul_f64 v[79:80], v[22:23], v[38:39]
	v_mul_f64 v[38:39], v[58:59], v[38:39]
	v_mul_f64 v[125:126], v[18:19], v[89:90]
	v_mul_f64 v[123:124], v[16:17], v[93:94]
	v_mul_f64 v[119:120], v[8:9], v[46:47]
	v_mul_f64 v[46:47], v[52:53], v[46:47]
	v_mul_f64 v[121:122], v[10:11], v[42:43]
	v_mul_f64 v[42:43], v[54:55], v[42:43]
	v_mul_f64 v[93:94], v[60:61], v[93:94]
	v_mul_f64 v[89:90], v[62:63], v[89:90]
	v_fma_f64 v[56:57], v[56:57], v[32:33], -v[77:78]
	v_fma_f64 v[77:78], v[20:21], v[32:33], v[34:35]
	v_fma_f64 v[58:59], v[58:59], v[36:37], -v[79:80]
	v_fma_f64 v[20:21], v[62:63], v[87:88], -v[125:126]
	v_fma_f64 v[60:61], v[60:61], v[91:92], -v[123:124]
	v_fma_f64 v[79:80], v[22:23], v[36:37], v[38:39]
	v_fma_f64 v[52:53], v[52:53], v[44:45], -v[119:120]
	v_fma_f64 v[8:9], v[8:9], v[44:45], v[46:47]
	v_fma_f64 v[62:63], v[16:17], v[91:92], v[93:94]
	v_fma_f64 v[16:17], v[54:55], v[40:41], -v[121:122]
	v_fma_f64 v[10:11], v[10:11], v[40:41], v[42:43]
	v_fma_f64 v[18:19], v[18:19], v[87:88], v[89:90]
	v_add_f64 v[36:37], v[56:57], v[20:21]
	v_add_f64 v[38:39], v[58:59], v[60:61]
	v_mul_f64 v[127:128], v[30:31], v[97:98]
	v_mul_f64 v[97:98], v[71:72], v[97:98]
	;; [unrolled: 1-line block ×3, first 2 shown]
	v_add_f64 v[34:35], v[79:80], -v[62:63]
	v_add_f64 v[40:41], v[52:53], v[16:17]
	v_add_f64 v[42:43], v[10:11], -v[8:9]
	v_add_f64 v[87:88], v[77:78], -v[18:19]
	v_add_f64 v[89:90], v[38:39], v[36:37]
	v_mul_f64 v[101:102], v[69:70], v[101:102]
	v_fma_f64 v[22:23], v[71:72], v[95:96], -v[127:128]
	v_fma_f64 v[32:33], v[30:31], v[95:96], v[97:98]
	v_fma_f64 v[30:31], v[69:70], v[99:100], -v[129:130]
	v_add_f64 v[71:72], v[36:37], -v[40:41]
	v_add_f64 v[93:94], v[42:43], -v[34:35]
	;; [unrolled: 1-line block ×3, first 2 shown]
	v_add_f64 v[89:90], v[40:41], v[89:90]
	v_add_f64 v[40:41], v[40:41], -v[38:39]
	v_add_f64 v[95:96], v[42:43], v[34:35]
	v_add_f64 v[42:43], v[87:88], -v[42:43]
	v_fma_f64 v[34:35], v[0:1], v[99:100], v[101:102]
	v_mul_f64 v[71:72], v[71:72], s[6:7]
	v_mul_f64 v[93:94], v[93:94], s[12:13]
	;; [unrolled: 1-line block ×3, first 2 shown]
	v_add_f64 v[73:74], v[73:74], v[89:90]
	v_add_f64 v[36:37], v[38:39], -v[36:37]
	v_mul_f64 v[38:39], v[40:41], s[4:5]
	v_mul_f64 v[131:132], v[2:3], v[105:106]
	;; [unrolled: 1-line block ×3, first 2 shown]
	v_add_f64 v[87:88], v[95:96], v[87:88]
	v_fma_f64 v[40:41], v[40:41], s[4:5], v[71:72]
	v_fma_f64 v[95:96], v[42:43], s[20:21], v[93:94]
	v_fma_f64 v[69:70], v[69:70], s[10:11], -v[93:94]
	v_fma_f64 v[0:1], v[42:43], s[24:25], -v[0:1]
	v_fma_f64 v[42:43], v[89:90], s[14:15], v[73:74]
	v_fma_f64 v[71:72], v[36:37], s[18:19], -v[71:72]
	v_fma_f64 v[89:90], v[36:37], s[16:17], -v[38:39]
	v_mul_f64 v[133:134], v[4:5], v[109:110]
	v_mul_f64 v[109:110], v[48:49], v[109:110]
	;; [unrolled: 1-line block ×6, first 2 shown]
	v_fma_f64 v[36:37], v[14:15], v[103:104], -v[131:132]
	v_fma_f64 v[38:39], v[2:3], v[103:104], v[105:106]
	v_fma_f64 v[2:3], v[87:88], s[22:23], v[95:96]
	v_fma_f64 v[14:15], v[87:88], s[22:23], v[69:70]
	v_add_f64 v[69:70], v[40:41], v[42:43]
	v_fma_f64 v[0:1], v[87:88], s[22:23], v[0:1]
	v_add_f64 v[71:72], v[71:72], v[42:43]
	v_add_f64 v[87:88], v[89:90], v[42:43]
	v_fma_f64 v[40:41], v[48:49], v[107:108], -v[133:134]
	v_fma_f64 v[42:43], v[4:5], v[107:108], v[109:110]
	v_fma_f64 v[44:45], v[50:51], v[111:112], -v[44:45]
	v_fma_f64 v[46:47], v[6:7], v[111:112], v[46:47]
	v_fma_f64 v[48:49], v[75:76], v[115:116], -v[54:55]
	v_add_f64 v[4:5], v[2:3], v[69:70]
	v_fma_f64 v[28:29], v[28:29], v[115:116], v[91:92]
	v_add_f64 v[6:7], v[0:1], v[71:72]
	v_add_f64 v[50:51], v[87:88], -v[14:15]
	v_add_f64 v[14:15], v[14:15], v[87:88]
	v_add_f64 v[0:1], v[71:72], -v[0:1]
	v_add_f64 v[2:3], v[69:70], -v[2:3]
	ds_write2_b64 v85, v[73:74], v[4:5] offset1:11
	ds_write2_b64 v85, v[6:7], v[50:51] offset0:22 offset1:33
	ds_write2_b64 v85, v[14:15], v[0:1] offset0:44 offset1:55
	ds_write_b64 v85, v[2:3] offset:528
	s_and_saveexec_b64 s[26:27], vcc
	s_cbranch_execz .LBB0_16
; %bb.15:
	v_add_f64 v[0:1], v[30:31], v[44:45]
	v_add_f64 v[2:3], v[22:23], v[48:49]
	v_add_f64 v[4:5], v[42:43], -v[38:39]
	v_add_f64 v[6:7], v[34:35], -v[46:47]
	v_add_f64 v[14:15], v[36:37], v[40:41]
	v_add_f64 v[50:51], v[32:33], -v[28:29]
	v_add_f64 v[54:55], v[0:1], v[2:3]
	v_add_f64 v[69:70], v[4:5], -v[6:7]
	v_add_f64 v[71:72], v[2:3], -v[14:15]
	v_add_f64 v[73:74], v[6:7], -v[50:51]
	v_add_f64 v[75:76], v[14:15], -v[0:1]
	v_add_f64 v[6:7], v[4:5], v[6:7]
	v_add_f64 v[4:5], v[50:51], -v[4:5]
	v_add_f64 v[14:15], v[14:15], v[54:55]
	v_add_f64 v[0:1], v[0:1], -v[2:3]
	v_mul_f64 v[2:3], v[69:70], s[12:13]
	v_mul_f64 v[54:55], v[71:72], s[6:7]
	;; [unrolled: 1-line block ×4, first 2 shown]
	v_add_f64 v[6:7], v[6:7], v[50:51]
	v_add_f64 v[12:13], v[12:13], v[14:15]
	v_fma_f64 v[50:51], v[4:5], s[20:21], v[2:3]
	v_fma_f64 v[87:88], v[0:1], s[18:19], -v[54:55]
	v_fma_f64 v[4:5], v[4:5], s[24:25], -v[69:70]
	;; [unrolled: 1-line block ×4, first 2 shown]
	v_fma_f64 v[54:55], v[75:76], s[4:5], v[54:55]
	v_fma_f64 v[14:15], v[14:15], s[14:15], v[12:13]
	;; [unrolled: 1-line block ×5, first 2 shown]
	v_add_f64 v[6:7], v[87:88], v[14:15]
	v_add_f64 v[0:1], v[0:1], v[14:15]
	;; [unrolled: 1-line block ×3, first 2 shown]
	v_add_f64 v[54:55], v[6:7], -v[4:5]
	v_add_f64 v[69:70], v[0:1], -v[2:3]
	v_add_f64 v[71:72], v[50:51], v[14:15]
	v_add_f64 v[4:5], v[4:5], v[6:7]
	;; [unrolled: 1-line block ×3, first 2 shown]
	v_add_f64 v[2:3], v[14:15], -v[50:51]
	v_mad_u32_u24 v6, v82, s28, 0
	v_lshlrev_b32_sdwa v7, v86, v83 dst_sel:DWORD dst_unused:UNUSED_PAD src0_sel:DWORD src1_sel:BYTE_0
	v_add3_u32 v6, v6, v7, v84
	ds_write2_b64 v6, v[12:13], v[71:72] offset1:11
	ds_write2_b64 v6, v[4:5], v[69:70] offset0:22 offset1:33
	ds_write2_b64 v6, v[0:1], v[54:55] offset0:44 offset1:55
	ds_write_b64 v6, v[2:3] offset:528
.LBB0_16:
	s_or_b64 exec, exec, s[26:27]
	v_add_f64 v[0:1], v[77:78], v[18:19]
	v_add_f64 v[2:3], v[79:80], v[62:63]
	v_add_f64 v[4:5], v[58:59], -v[60:61]
	v_add_f64 v[6:7], v[8:9], v[10:11]
	v_add_f64 v[8:9], v[16:17], -v[52:53]
	v_add_f64 v[10:11], v[56:57], -v[20:21]
	s_waitcnt lgkmcnt(0)
	s_barrier
	v_add_f64 v[12:13], v[2:3], v[0:1]
	v_add_f64 v[14:15], v[0:1], -v[6:7]
	v_add_f64 v[16:17], v[8:9], -v[4:5]
	;; [unrolled: 1-line block ×3, first 2 shown]
	v_add_f64 v[4:5], v[8:9], v[4:5]
	v_add_f64 v[8:9], v[10:11], -v[8:9]
	v_add_f64 v[0:1], v[2:3], -v[0:1]
	v_add_f64 v[12:13], v[6:7], v[12:13]
	v_add_f64 v[6:7], v[6:7], -v[2:3]
	v_mul_f64 v[14:15], v[14:15], s[6:7]
	v_mul_f64 v[16:17], v[16:17], s[12:13]
	;; [unrolled: 1-line block ×3, first 2 shown]
	v_add_f64 v[4:5], v[4:5], v[10:11]
	v_add_f64 v[50:51], v[26:27], v[12:13]
	v_mul_f64 v[2:3], v[6:7], s[4:5]
	v_fma_f64 v[6:7], v[6:7], s[4:5], v[14:15]
	v_fma_f64 v[10:11], v[8:9], s[20:21], v[16:17]
	v_fma_f64 v[8:9], v[8:9], s[24:25], -v[20:21]
	v_fma_f64 v[14:15], v[0:1], s[18:19], -v[14:15]
	;; [unrolled: 1-line block ×3, first 2 shown]
	ds_read_b64 v[20:21], v81
	v_fma_f64 v[12:13], v[12:13], s[14:15], v[50:51]
	v_fma_f64 v[0:1], v[0:1], s[16:17], -v[2:3]
	v_fma_f64 v[10:11], v[4:5], s[22:23], v[10:11]
	v_fma_f64 v[8:9], v[4:5], s[22:23], v[8:9]
	;; [unrolled: 1-line block ×3, first 2 shown]
	v_add_f64 v[18:19], v[6:7], v[12:13]
	v_add_f64 v[14:15], v[14:15], v[12:13]
	;; [unrolled: 1-line block ×3, first 2 shown]
	v_lshlrev_b32_e32 v0, 3, v68
	v_add3_u32 v26, 0, v0, v84
	v_add_u32_e32 v4, 0x400, v26
	ds_read2_b64 v[0:3], v26 offset0:77 offset1:154
	ds_read2_b64 v[4:7], v4 offset0:103 offset1:180
	v_add_f64 v[52:53], v[18:19], -v[10:11]
	v_add_f64 v[54:55], v[14:15], -v[8:9]
	v_add_f64 v[60:61], v[8:9], v[14:15]
	v_add_u32_e32 v8, 0x800, v26
	v_add_f64 v[56:57], v[16:17], v[12:13]
	v_add_f64 v[58:59], v[12:13], -v[16:17]
	v_add_f64 v[62:63], v[10:11], v[18:19]
	ds_read2_b64 v[16:19], v8 offset0:129 offset1:206
	v_add_u32_e32 v8, 0x1000, v26
	ds_read2_b64 v[12:15], v8 offset0:27 offset1:104
	v_add_u32_e32 v8, 0x1400, v26
	ds_read2_b64 v[8:11], v8 offset0:53 offset1:130
	s_waitcnt lgkmcnt(0)
	s_barrier
	ds_write2_b64 v85, v[50:51], v[52:53] offset1:11
	ds_write2_b64 v85, v[54:55], v[56:57] offset0:22 offset1:33
	ds_write2_b64 v85, v[58:59], v[60:61] offset0:44 offset1:55
	ds_write_b64 v85, v[62:63] offset:528
	s_and_saveexec_b64 s[4:5], vcc
	s_cbranch_execz .LBB0_18
; %bb.17:
	v_add_f64 v[27:28], v[32:33], v[28:29]
	v_add_f64 v[32:33], v[34:35], v[46:47]
	;; [unrolled: 1-line block ×3, first 2 shown]
	v_add_f64 v[29:30], v[30:31], -v[44:45]
	v_add_f64 v[36:37], v[40:41], -v[36:37]
	;; [unrolled: 1-line block ×3, first 2 shown]
	s_mov_b32 s10, 0x36b3c0b5
	s_mov_b32 s11, 0x3fac98ee
	;; [unrolled: 1-line block ×3, first 2 shown]
	v_add_f64 v[38:39], v[32:33], v[27:28]
	v_add_f64 v[40:41], v[27:28], -v[34:35]
	v_add_f64 v[27:28], v[32:33], -v[27:28]
	v_add_f64 v[42:43], v[36:37], v[29:30]
	v_add_f64 v[44:45], v[36:37], -v[29:30]
	v_add_f64 v[29:30], v[29:30], -v[22:23]
	s_mov_b32 s15, 0x3febfeb5
	s_mov_b32 s16, 0xaaaaaaaa
	v_add_f64 v[38:39], v[34:35], v[38:39]
	v_add_f64 v[34:35], v[34:35], -v[32:33]
	v_mul_f64 v[40:41], v[40:41], s[6:7]
	v_add_f64 v[31:32], v[22:23], -v[36:37]
	v_add_f64 v[22:23], v[42:43], v[22:23]
	v_mul_f64 v[42:43], v[44:45], s[12:13]
	v_mul_f64 v[44:45], v[29:30], s[14:15]
	s_mov_b32 s7, 0x3fe77f67
	v_add_f64 v[24:25], v[24:25], v[38:39]
	v_mul_f64 v[36:37], v[34:35], s[10:11]
	s_mov_b32 s6, 0x5476071b
	v_fma_f64 v[33:34], v[34:35], s[10:11], v[40:41]
	s_mov_b32 s17, 0xbff2aaaa
	v_fma_f64 v[29:30], v[29:30], s[14:15], -v[42:43]
	v_fma_f64 v[38:39], v[38:39], s[16:17], v[24:25]
	v_fma_f64 v[35:36], v[27:28], s[6:7], -v[36:37]
	s_mov_b32 s7, 0xbfe77f67
	v_fma_f64 v[27:28], v[27:28], s[6:7], -v[40:41]
	s_mov_b32 s7, 0x3fd5d0dc
	s_mov_b32 s6, 0xb247c609
	v_fma_f64 v[40:41], v[31:32], s[6:7], v[42:43]
	s_mov_b32 s7, 0xbfd5d0dc
	v_fma_f64 v[31:32], v[31:32], s[6:7], -v[44:45]
	s_mov_b32 s6, 0x37c3f68c
	s_mov_b32 s7, 0x3fdc38aa
	v_add_f64 v[33:34], v[33:34], v[38:39]
	v_add_f64 v[35:36], v[35:36], v[38:39]
	;; [unrolled: 1-line block ×3, first 2 shown]
	v_fma_f64 v[37:38], v[22:23], s[6:7], v[40:41]
	v_fma_f64 v[31:32], v[22:23], s[6:7], v[31:32]
	v_fma_f64 v[22:23], v[22:23], s[6:7], v[29:30]
	s_movk_i32 s6, 0x268
	v_add_f64 v[29:30], v[33:34], -v[37:38]
	v_add_f64 v[39:40], v[27:28], -v[31:32]
	v_add_f64 v[41:42], v[22:23], v[35:36]
	v_add_f64 v[22:23], v[35:36], -v[22:23]
	v_add_f64 v[27:28], v[31:32], v[27:28]
	v_add_f64 v[31:32], v[37:38], v[33:34]
	v_mov_b32_e32 v34, 3
	v_mad_u32_u24 v33, v82, s6, 0
	v_lshlrev_b32_sdwa v34, v34, v83 dst_sel:DWORD dst_unused:UNUSED_PAD src0_sel:DWORD src1_sel:BYTE_0
	v_add3_u32 v33, v33, v34, v84
	ds_write2_b64 v33, v[24:25], v[29:30] offset1:11
	ds_write2_b64 v33, v[39:40], v[41:42] offset0:22 offset1:33
	ds_write2_b64 v33, v[22:23], v[27:28] offset0:44 offset1:55
	ds_write_b64 v33, v[31:32] offset:528
.LBB0_18:
	s_or_b64 exec, exec, s[4:5]
	s_waitcnt lgkmcnt(0)
	s_barrier
	s_and_saveexec_b64 s[4:5], s[0:1]
	s_cbranch_execz .LBB0_20
; %bb.19:
	v_mul_u32_u24_e32 v22, 10, v68
	v_lshlrev_b32_e32 v22, 4, v22
	global_load_dwordx4 v[27:30], v22, s[8:9] offset:1120
	global_load_dwordx4 v[31:34], v22, s[8:9] offset:1136
	;; [unrolled: 1-line block ×10, first 2 shown]
	v_add_u32_e32 v24, 0x800, v26
	v_add_u32_e32 v25, 0x400, v26
	;; [unrolled: 1-line block ×3, first 2 shown]
	ds_read2_b64 v[86:89], v26 offset0:77 offset1:154
	v_add_u32_e32 v26, 0x1400, v26
	ds_read_b64 v[22:23], v81
	ds_read2_b64 v[50:53], v24 offset0:129 offset1:206
	ds_read2_b64 v[90:93], v25 offset0:103 offset1:180
	;; [unrolled: 1-line block ×4, first 2 shown]
	s_mov_b32 s10, 0x9bcd5057
	s_mov_b32 s11, 0xbfeeb42a
	;; [unrolled: 1-line block ×30, first 2 shown]
	s_waitcnt vmcnt(9)
	v_mul_f64 v[24:25], v[16:17], v[29:30]
	s_waitcnt vmcnt(8)
	v_mul_f64 v[36:37], v[18:19], v[33:34]
	s_waitcnt lgkmcnt(3)
	v_mul_f64 v[62:63], v[52:53], v[33:34]
	s_waitcnt vmcnt(7)
	v_mul_f64 v[68:69], v[6:7], v[40:41]
	s_waitcnt vmcnt(6)
	v_mul_f64 v[74:75], v[12:13], v[44:45]
	s_waitcnt lgkmcnt(1)
	v_mul_f64 v[44:45], v[94:95], v[44:45]
	v_mul_f64 v[29:30], v[50:51], v[29:30]
	;; [unrolled: 1-line block ×3, first 2 shown]
	s_waitcnt vmcnt(1)
	v_mul_f64 v[110:111], v[0:1], v[78:79]
	s_waitcnt vmcnt(0)
	v_mul_f64 v[112:113], v[10:11], v[84:85]
	v_mul_f64 v[102:103], v[4:5], v[48:49]
	;; [unrolled: 1-line block ×7, first 2 shown]
	s_waitcnt lgkmcnt(0)
	v_mul_f64 v[114:115], v[100:101], v[84:85]
	v_fma_f64 v[34:35], v[50:51], v[27:28], v[24:25]
	v_fma_f64 v[24:25], v[52:53], v[31:32], v[36:37]
	v_fma_f64 v[36:37], v[18:19], v[31:32], -v[62:63]
	v_fma_f64 v[52:53], v[92:93], v[38:39], v[68:69]
	v_fma_f64 v[32:33], v[12:13], v[42:43], -v[44:45]
	v_fma_f64 v[92:93], v[86:87], v[76:77], v[110:111]
	v_fma_f64 v[12:13], v[100:101], v[82:83], v[112:113]
	v_mul_f64 v[48:49], v[90:91], v[48:49]
	v_mul_f64 v[60:61], v[88:89], v[60:61]
	;; [unrolled: 1-line block ×3, first 2 shown]
	v_fma_f64 v[40:41], v[16:17], v[27:28], -v[29:30]
	v_fma_f64 v[30:31], v[94:95], v[42:43], v[74:75]
	v_fma_f64 v[74:75], v[90:91], v[46:47], v[102:103]
	v_fma_f64 v[28:29], v[14:15], v[54:55], -v[56:57]
	v_fma_f64 v[84:85], v[88:89], v[58:59], v[106:107]
	v_fma_f64 v[16:17], v[98:99], v[70:71], v[108:109]
	v_fma_f64 v[90:91], v[0:1], v[76:77], -v[78:79]
	v_fma_f64 v[14:15], v[10:11], v[82:83], -v[114:115]
	v_add_f64 v[98:99], v[92:93], v[12:13]
	v_fma_f64 v[50:51], v[6:7], v[38:39], -v[80:81]
	v_fma_f64 v[26:27], v[96:97], v[54:55], v[104:105]
	v_fma_f64 v[80:81], v[2:3], v[58:59], -v[60:61]
	v_fma_f64 v[18:19], v[8:9], v[70:71], -v[72:73]
	v_add_f64 v[96:97], v[84:85], v[16:17]
	v_add_f64 v[86:87], v[92:93], -v[12:13]
	v_add_f64 v[58:59], v[90:91], -v[14:15]
	v_mul_f64 v[0:1], v[98:99], s[10:11]
	v_fma_f64 v[68:69], v[4:5], v[46:47], -v[48:49]
	v_add_f64 v[94:95], v[74:75], v[26:27]
	v_add_f64 v[78:79], v[84:85], -v[16:17]
	v_add_f64 v[54:55], v[80:81], -v[18:19]
	v_add_f64 v[72:73], v[90:91], v[14:15]
	v_mul_f64 v[2:3], v[96:97], s[12:13]
	v_mul_f64 v[4:5], v[86:87], s[24:25]
	v_fma_f64 v[6:7], v[58:59], s[26:27], v[0:1]
	v_add_f64 v[88:89], v[52:53], v[30:31]
	v_add_f64 v[48:49], v[68:69], -v[28:29]
	v_add_f64 v[70:71], v[74:75], -v[26:27]
	v_add_f64 v[60:61], v[80:81], v[18:19]
	v_mul_f64 v[100:101], v[94:95], s[0:1]
	v_mul_f64 v[104:105], v[78:79], s[28:29]
	v_fma_f64 v[106:107], v[54:55], s[14:15], v[2:3]
	v_fma_f64 v[108:109], v[72:73], s[10:11], v[4:5]
	v_add_f64 v[6:7], v[22:23], v[6:7]
	v_fma_f64 v[0:1], v[58:59], s[24:25], v[0:1]
	v_fma_f64 v[4:5], v[72:73], s[10:11], -v[4:5]
	v_add_f64 v[82:83], v[34:35], v[24:25]
	v_add_f64 v[44:45], v[50:51], -v[32:33]
	v_add_f64 v[62:63], v[52:53], -v[30:31]
	v_add_f64 v[56:57], v[68:69], v[28:29]
	v_mul_f64 v[10:11], v[88:89], s[6:7]
	v_mul_f64 v[110:111], v[70:71], s[22:23]
	v_fma_f64 v[112:113], v[48:49], s[16:17], v[100:101]
	v_fma_f64 v[114:115], v[60:61], s[12:13], v[104:105]
	;; [unrolled: 1-line block ×3, first 2 shown]
	v_add_f64 v[108:109], v[20:21], v[108:109]
	v_add_f64 v[6:7], v[106:107], v[6:7]
	v_add_f64 v[0:1], v[22:23], v[0:1]
	v_fma_f64 v[104:105], v[60:61], s[12:13], -v[104:105]
	v_add_f64 v[4:5], v[20:21], v[4:5]
	v_add_f64 v[38:39], v[40:41], -v[36:37]
	v_add_f64 v[76:77], v[34:35], -v[24:25]
	v_add_f64 v[46:47], v[50:51], v[32:33]
	v_mul_f64 v[8:9], v[82:83], s[4:5]
	v_mul_f64 v[102:103], v[62:63], s[30:31]
	v_fma_f64 v[106:107], v[44:45], s[8:9], v[10:11]
	v_fma_f64 v[116:117], v[56:57], s[0:1], v[110:111]
	;; [unrolled: 1-line block ×3, first 2 shown]
	v_add_f64 v[108:109], v[114:115], v[108:109]
	v_add_f64 v[6:7], v[112:113], v[6:7]
	;; [unrolled: 1-line block ×3, first 2 shown]
	v_fma_f64 v[2:3], v[56:57], s[0:1], -v[110:111]
	v_add_f64 v[4:5], v[104:105], v[4:5]
	v_add_f64 v[42:43], v[40:41], v[36:37]
	v_mul_f64 v[104:105], v[76:77], s[20:21]
	v_fma_f64 v[110:111], v[46:47], s[6:7], v[102:103]
	v_add_f64 v[108:109], v[116:117], v[108:109]
	v_fma_f64 v[10:11], v[44:45], s[30:31], v[10:11]
	v_add_f64 v[0:1], v[100:101], v[0:1]
	v_fma_f64 v[100:101], v[38:39], s[18:19], v[8:9]
	v_fma_f64 v[102:103], v[46:47], s[6:7], -v[102:103]
	v_add_f64 v[2:3], v[2:3], v[4:5]
	v_add_f64 v[4:5], v[106:107], v[6:7]
	v_fma_f64 v[6:7], v[42:43], s[4:5], v[104:105]
	v_add_f64 v[106:107], v[110:111], v[108:109]
	v_fma_f64 v[8:9], v[38:39], s[20:21], v[8:9]
	v_add_f64 v[10:11], v[10:11], v[0:1]
	v_fma_f64 v[104:105], v[42:43], s[4:5], -v[104:105]
	v_mul_f64 v[108:109], v[98:99], s[0:1]
	v_add_f64 v[102:103], v[102:103], v[2:3]
	v_add_f64 v[2:3], v[100:101], v[4:5]
	v_mul_f64 v[100:101], v[86:87], s[22:23]
	v_add_f64 v[0:1], v[6:7], v[106:107]
	v_mul_f64 v[112:113], v[94:95], s[12:13]
	;; [unrolled: 2-line block ×3, first 2 shown]
	v_fma_f64 v[10:11], v[58:59], s[16:17], v[108:109]
	v_add_f64 v[4:5], v[104:105], v[102:103]
	v_mul_f64 v[102:103], v[78:79], s[18:19]
	v_fma_f64 v[104:105], v[72:73], s[0:1], v[100:101]
	v_fma_f64 v[108:109], v[58:59], s[22:23], v[108:109]
	v_mul_f64 v[116:117], v[70:71], s[14:15]
	v_mul_f64 v[120:121], v[88:89], s[10:11]
	v_fma_f64 v[114:115], v[54:55], s[20:21], v[8:9]
	v_add_f64 v[10:11], v[22:23], v[10:11]
	v_fma_f64 v[8:9], v[54:55], s[18:19], v[8:9]
	v_fma_f64 v[118:119], v[60:61], s[4:5], v[102:103]
	v_add_f64 v[104:105], v[20:21], v[104:105]
	v_add_f64 v[108:109], v[22:23], v[108:109]
	v_fma_f64 v[122:123], v[48:49], s[28:29], v[112:113]
	v_fma_f64 v[100:101], v[72:73], s[0:1], -v[100:101]
	v_fma_f64 v[112:113], v[48:49], s[14:15], v[112:113]
	v_add_f64 v[10:11], v[114:115], v[10:11]
	v_mul_f64 v[114:115], v[62:63], s[24:25]
	v_mul_f64 v[110:111], v[82:83], s[6:7]
	v_add_f64 v[104:105], v[118:119], v[104:105]
	v_fma_f64 v[118:119], v[56:57], s[12:13], v[116:117]
	v_add_f64 v[8:9], v[8:9], v[108:109]
	v_fma_f64 v[108:109], v[44:45], s[26:27], v[120:121]
	v_fma_f64 v[102:103], v[60:61], s[4:5], -v[102:103]
	v_add_f64 v[100:101], v[20:21], v[100:101]
	v_add_f64 v[10:11], v[122:123], v[10:11]
	v_mul_f64 v[122:123], v[98:99], s[4:5]
	v_fma_f64 v[120:121], v[44:45], s[24:25], v[120:121]
	v_add_f64 v[104:105], v[118:119], v[104:105]
	v_fma_f64 v[118:119], v[46:47], s[10:11], v[114:115]
	v_add_f64 v[8:9], v[112:113], v[8:9]
	v_fma_f64 v[106:107], v[38:39], s[8:9], v[110:111]
	v_fma_f64 v[112:113], v[56:57], s[12:13], -v[116:117]
	v_add_f64 v[100:101], v[102:103], v[100:101]
	v_mul_f64 v[102:103], v[96:97], s[10:11]
	v_fma_f64 v[116:117], v[58:59], s[18:19], v[122:123]
	v_add_f64 v[10:11], v[108:109], v[10:11]
	v_add_f64 v[104:105], v[118:119], v[104:105]
	;; [unrolled: 1-line block ×3, first 2 shown]
	v_fma_f64 v[8:9], v[46:47], s[10:11], -v[114:115]
	v_mul_f64 v[114:115], v[86:87], s[20:21]
	v_fma_f64 v[122:123], v[58:59], s[20:21], v[122:123]
	v_mul_f64 v[108:109], v[76:77], s[30:31]
	v_add_f64 v[100:101], v[112:113], v[100:101]
	v_fma_f64 v[112:113], v[54:55], s[24:25], v[102:103]
	v_add_f64 v[116:117], v[22:23], v[116:117]
	v_mul_f64 v[120:121], v[94:95], s[6:7]
	v_add_f64 v[10:11], v[106:107], v[10:11]
	v_mul_f64 v[106:107], v[78:79], s[26:27]
	v_fma_f64 v[126:127], v[72:73], s[4:5], v[114:115]
	v_fma_f64 v[102:103], v[54:55], s[26:27], v[102:103]
	v_add_f64 v[122:123], v[22:23], v[122:123]
	v_fma_f64 v[124:125], v[42:43], s[6:7], v[108:109]
	v_fma_f64 v[108:109], v[42:43], s[6:7], -v[108:109]
	v_mul_f64 v[128:129], v[88:89], s[12:13]
	v_add_f64 v[112:113], v[112:113], v[116:117]
	v_fma_f64 v[116:117], v[48:49], s[8:9], v[120:121]
	v_fma_f64 v[130:131], v[60:61], s[10:11], v[106:107]
	v_add_f64 v[126:127], v[20:21], v[126:127]
	v_mul_f64 v[132:133], v[70:71], s[30:31]
	v_add_f64 v[100:101], v[8:9], v[100:101]
	v_fma_f64 v[114:115], v[72:73], s[4:5], -v[114:115]
	v_add_f64 v[122:123], v[102:103], v[122:123]
	v_fma_f64 v[120:121], v[48:49], s[30:31], v[120:121]
	v_fma_f64 v[110:111], v[38:39], s[30:31], v[110:111]
	v_add_f64 v[8:9], v[124:125], v[104:105]
	v_fma_f64 v[104:105], v[44:45], s[28:29], v[128:129]
	v_add_f64 v[112:113], v[116:117], v[112:113]
	v_add_f64 v[116:117], v[130:131], v[126:127]
	v_fma_f64 v[124:125], v[56:57], s[6:7], v[132:133]
	v_mul_f64 v[126:127], v[62:63], s[14:15]
	v_add_f64 v[100:101], v[108:109], v[100:101]
	v_add_f64 v[108:109], v[20:21], v[114:115]
	;; [unrolled: 1-line block ×3, first 2 shown]
	v_mul_f64 v[120:121], v[98:99], s[6:7]
	v_add_f64 v[102:103], v[110:111], v[118:119]
	v_add_f64 v[104:105], v[104:105], v[112:113]
	v_fma_f64 v[106:107], v[60:61], s[10:11], -v[106:107]
	v_add_f64 v[110:111], v[124:125], v[116:117]
	v_fma_f64 v[112:113], v[46:47], s[12:13], v[126:127]
	v_mul_f64 v[116:117], v[82:83], s[0:1]
	v_mul_f64 v[122:123], v[86:87], s[8:9]
	v_fma_f64 v[124:125], v[44:45], s[14:15], v[128:129]
	v_mul_f64 v[128:129], v[96:97], s[0:1]
	v_fma_f64 v[130:131], v[58:59], s[30:31], v[120:121]
	v_fma_f64 v[118:119], v[56:57], s[6:7], -v[132:133]
	v_add_f64 v[106:107], v[106:107], v[108:109]
	v_add_f64 v[110:111], v[112:113], v[110:111]
	v_fma_f64 v[112:113], v[38:39], s[16:17], v[116:117]
	v_fma_f64 v[132:133], v[72:73], s[6:7], v[122:123]
	v_mul_f64 v[134:135], v[78:79], s[22:23]
	v_mul_f64 v[138:139], v[94:95], s[10:11]
	v_fma_f64 v[140:141], v[54:55], s[16:17], v[128:129]
	v_add_f64 v[130:131], v[22:23], v[130:131]
	v_mul_f64 v[108:109], v[76:77], s[22:23]
	v_add_f64 v[118:119], v[118:119], v[106:107]
	v_mul_f64 v[144:145], v[70:71], s[26:27]
	v_add_f64 v[132:133], v[20:21], v[132:133]
	v_fma_f64 v[142:143], v[60:61], s[0:1], v[134:135]
	v_add_f64 v[114:115], v[124:125], v[114:115]
	v_add_f64 v[106:107], v[112:113], v[104:105]
	v_fma_f64 v[112:113], v[38:39], s[22:23], v[116:117]
	v_fma_f64 v[116:117], v[48:49], s[24:25], v[138:139]
	v_add_f64 v[124:125], v[140:141], v[130:131]
	v_mul_f64 v[130:131], v[88:89], s[4:5]
	v_fma_f64 v[126:127], v[46:47], s[12:13], -v[126:127]
	v_fma_f64 v[136:137], v[42:43], s[0:1], v[108:109]
	v_add_f64 v[132:133], v[142:143], v[132:133]
	v_fma_f64 v[140:141], v[56:57], s[10:11], v[144:145]
	v_mul_f64 v[142:143], v[62:63], s[18:19]
	v_fma_f64 v[120:121], v[58:59], s[8:9], v[120:121]
	v_add_f64 v[116:117], v[116:117], v[124:125]
	v_fma_f64 v[124:125], v[44:45], s[20:21], v[130:131]
	v_mul_f64 v[98:99], v[98:99], s[12:13]
	v_add_f64 v[118:119], v[126:127], v[118:119]
	v_add_f64 v[104:105], v[136:137], v[110:111]
	;; [unrolled: 1-line block ×3, first 2 shown]
	v_fma_f64 v[132:133], v[46:47], s[4:5], v[142:143]
	v_add_f64 v[110:111], v[112:113], v[114:115]
	v_fma_f64 v[112:113], v[54:55], s[22:23], v[128:129]
	v_add_f64 v[114:115], v[22:23], v[120:121]
	v_add_f64 v[116:117], v[124:125], v[116:117]
	v_fma_f64 v[124:125], v[58:59], s[28:29], v[98:99]
	v_mul_f64 v[96:97], v[96:97], s[6:7]
	v_mul_f64 v[86:87], v[86:87], s[14:15]
	v_add_f64 v[120:121], v[132:133], v[126:127]
	v_fma_f64 v[132:133], v[60:61], s[0:1], -v[134:135]
	v_fma_f64 v[122:123], v[72:73], s[6:7], -v[122:123]
	v_add_f64 v[112:113], v[112:113], v[114:115]
	v_fma_f64 v[114:115], v[48:49], s[26:27], v[138:139]
	v_add_f64 v[124:125], v[22:23], v[124:125]
	v_fma_f64 v[134:135], v[54:55], s[30:31], v[96:97]
	v_fma_f64 v[58:59], v[58:59], s[14:15], v[98:99]
	v_fma_f64 v[108:109], v[42:43], s[0:1], -v[108:109]
	v_mul_f64 v[126:127], v[76:77], s[28:29]
	v_add_f64 v[122:123], v[20:21], v[122:123]
	v_mul_f64 v[94:95], v[94:95], s[4:5]
	v_add_f64 v[112:113], v[114:115], v[112:113]
	v_fma_f64 v[114:115], v[44:45], s[18:19], v[130:131]
	v_add_f64 v[130:131], v[22:23], v[92:93]
	v_add_f64 v[124:125], v[134:135], v[124:125]
	;; [unrolled: 1-line block ×3, first 2 shown]
	v_mul_f64 v[70:71], v[70:71], s[20:21]
	v_fma_f64 v[54:55], v[54:55], s[8:9], v[96:97]
	v_add_f64 v[22:23], v[22:23], v[58:59]
	v_add_f64 v[108:109], v[108:109], v[118:119]
	v_mul_f64 v[118:119], v[82:83], s[12:13]
	v_add_f64 v[84:85], v[84:85], v[130:131]
	v_fma_f64 v[136:137], v[42:43], s[12:13], v[126:127]
	v_add_f64 v[80:81], v[80:81], v[134:135]
	v_add_f64 v[122:123], v[132:133], v[122:123]
	v_fma_f64 v[132:133], v[56:57], s[10:11], -v[144:145]
	v_fma_f64 v[138:139], v[48:49], s[18:19], v[94:95]
	v_mul_f64 v[88:89], v[88:89], s[0:1]
	v_mul_f64 v[62:63], v[62:63], s[22:23]
	v_add_f64 v[74:75], v[74:75], v[84:85]
	v_fma_f64 v[48:49], v[48:49], s[20:21], v[94:95]
	v_add_f64 v[68:69], v[68:69], v[80:81]
	v_add_f64 v[22:23], v[54:55], v[22:23]
	v_fma_f64 v[128:129], v[38:39], s[14:15], v[118:119]
	v_add_f64 v[90:91], v[136:137], v[120:121]
	v_add_f64 v[112:113], v[114:115], v[112:113]
	;; [unrolled: 1-line block ×4, first 2 shown]
	v_fma_f64 v[74:75], v[72:73], s[12:13], v[86:87]
	v_add_f64 v[50:51], v[50:51], v[68:69]
	v_mul_f64 v[68:69], v[78:79], s[8:9]
	v_fma_f64 v[72:73], v[72:73], s[12:13], -v[86:87]
	v_fma_f64 v[120:121], v[46:47], s[4:5], -v[142:143]
	v_mul_f64 v[82:83], v[82:83], s[10:11]
	v_mul_f64 v[76:77], v[76:77], s[24:25]
	v_add_f64 v[34:35], v[34:35], v[52:53]
	v_add_f64 v[52:53], v[20:21], v[74:75]
	;; [unrolled: 1-line block ×3, first 2 shown]
	v_fma_f64 v[50:51], v[60:61], s[6:7], v[68:69]
	v_fma_f64 v[58:59], v[60:61], s[6:7], -v[68:69]
	v_add_f64 v[20:21], v[20:21], v[72:73]
	v_add_f64 v[22:23], v[48:49], v[22:23]
	;; [unrolled: 1-line block ×6, first 2 shown]
	v_fma_f64 v[36:37], v[56:57], s[4:5], v[70:71]
	v_add_f64 v[40:41], v[50:51], v[52:53]
	v_fma_f64 v[50:51], v[56:57], s[4:5], -v[70:71]
	v_add_f64 v[20:21], v[58:59], v[20:21]
	v_fma_f64 v[84:85], v[44:45], s[16:17], v[88:89]
	v_add_f64 v[24:25], v[30:31], v[24:25]
	v_fma_f64 v[118:119], v[38:39], s[28:29], v[118:119]
	;; [unrolled: 2-line block ×4, first 2 shown]
	v_fma_f64 v[40:41], v[46:47], s[0:1], -v[62:63]
	v_add_f64 v[20:21], v[50:51], v[20:21]
	v_add_f64 v[24:25], v[26:27], v[24:25]
	v_fma_f64 v[80:81], v[42:43], s[12:13], -v[126:127]
	v_add_f64 v[26:27], v[28:29], v[30:31]
	v_add_f64 v[114:115], v[120:121], v[114:115]
	v_fma_f64 v[120:121], v[38:39], s[26:27], v[82:83]
	v_fma_f64 v[28:29], v[42:43], s[10:11], v[76:77]
	v_add_f64 v[30:31], v[32:33], v[34:35]
	v_fma_f64 v[32:33], v[38:39], s[24:25], v[82:83]
	v_add_f64 v[34:35], v[36:37], v[22:23]
	v_fma_f64 v[36:37], v[42:43], s[10:11], -v[76:77]
	v_add_f64 v[38:39], v[40:41], v[20:21]
	v_add_f64 v[40:41], v[16:17], v[24:25]
	;; [unrolled: 1-line block ×11, first 2 shown]
	v_mov_b32_e32 v12, s3
	v_add_co_u32_e32 v14, vcc, s2, v64
	v_addc_co_u32_e32 v15, vcc, v12, v65, vcc
	v_lshlrev_b64 v[12:13], 4, v[66:67]
	v_add_f64 v[22:23], v[120:121], v[84:85]
	v_add_co_u32_e32 v12, vcc, v14, v12
	s_movk_i32 s16, 0x1000
	v_addc_co_u32_e32 v13, vcc, v15, v13, vcc
	v_add_co_u32_e32 v14, vcc, s16, v12
	v_addc_co_u32_e32 v15, vcc, 0, v13, vcc
	s_movk_i32 s0, 0x2000
	global_store_dwordx4 v[12:13], v[28:31], off
	global_store_dwordx4 v[12:13], v[24:27], off offset:1232
	global_store_dwordx4 v[12:13], v[16:19], off offset:2464
	;; [unrolled: 1-line block ×6, first 2 shown]
	s_nop 0
	v_add_co_u32_e32 v0, vcc, s0, v12
	v_addc_co_u32_e32 v1, vcc, 0, v13, vcc
	global_store_dwordx4 v[0:1], v[8:11], off offset:432
	global_store_dwordx4 v[0:1], v[104:107], off offset:1664
	;; [unrolled: 1-line block ×3, first 2 shown]
	v_add_co_u32_e32 v0, vcc, 0x3000, v12
	v_addc_co_u32_e32 v1, vcc, 0, v13, vcc
	global_store_dwordx4 v[0:1], v[20:23], off offset:32
.LBB0_20:
	s_endpgm
	.section	.rodata,"a",@progbits
	.p2align	6, 0x0
	.amdhsa_kernel fft_rtc_fwd_len847_factors_11_7_11_wgs_231_tpt_77_halfLds_dp_ip_CI_unitstride_sbrr_dirReg
		.amdhsa_group_segment_fixed_size 0
		.amdhsa_private_segment_fixed_size 0
		.amdhsa_kernarg_size 88
		.amdhsa_user_sgpr_count 6
		.amdhsa_user_sgpr_private_segment_buffer 1
		.amdhsa_user_sgpr_dispatch_ptr 0
		.amdhsa_user_sgpr_queue_ptr 0
		.amdhsa_user_sgpr_kernarg_segment_ptr 1
		.amdhsa_user_sgpr_dispatch_id 0
		.amdhsa_user_sgpr_flat_scratch_init 0
		.amdhsa_user_sgpr_private_segment_size 0
		.amdhsa_uses_dynamic_stack 0
		.amdhsa_system_sgpr_private_segment_wavefront_offset 0
		.amdhsa_system_sgpr_workgroup_id_x 1
		.amdhsa_system_sgpr_workgroup_id_y 0
		.amdhsa_system_sgpr_workgroup_id_z 0
		.amdhsa_system_sgpr_workgroup_info 0
		.amdhsa_system_vgpr_workitem_id 0
		.amdhsa_next_free_vgpr 146
		.amdhsa_next_free_sgpr 38
		.amdhsa_reserve_vcc 1
		.amdhsa_reserve_flat_scratch 0
		.amdhsa_float_round_mode_32 0
		.amdhsa_float_round_mode_16_64 0
		.amdhsa_float_denorm_mode_32 3
		.amdhsa_float_denorm_mode_16_64 3
		.amdhsa_dx10_clamp 1
		.amdhsa_ieee_mode 1
		.amdhsa_fp16_overflow 0
		.amdhsa_exception_fp_ieee_invalid_op 0
		.amdhsa_exception_fp_denorm_src 0
		.amdhsa_exception_fp_ieee_div_zero 0
		.amdhsa_exception_fp_ieee_overflow 0
		.amdhsa_exception_fp_ieee_underflow 0
		.amdhsa_exception_fp_ieee_inexact 0
		.amdhsa_exception_int_div_zero 0
	.end_amdhsa_kernel
	.text
.Lfunc_end0:
	.size	fft_rtc_fwd_len847_factors_11_7_11_wgs_231_tpt_77_halfLds_dp_ip_CI_unitstride_sbrr_dirReg, .Lfunc_end0-fft_rtc_fwd_len847_factors_11_7_11_wgs_231_tpt_77_halfLds_dp_ip_CI_unitstride_sbrr_dirReg
                                        ; -- End function
	.section	.AMDGPU.csdata,"",@progbits
; Kernel info:
; codeLenInByte = 10064
; NumSgprs: 42
; NumVgprs: 146
; ScratchSize: 0
; MemoryBound: 1
; FloatMode: 240
; IeeeMode: 1
; LDSByteSize: 0 bytes/workgroup (compile time only)
; SGPRBlocks: 5
; VGPRBlocks: 36
; NumSGPRsForWavesPerEU: 42
; NumVGPRsForWavesPerEU: 146
; Occupancy: 1
; WaveLimiterHint : 1
; COMPUTE_PGM_RSRC2:SCRATCH_EN: 0
; COMPUTE_PGM_RSRC2:USER_SGPR: 6
; COMPUTE_PGM_RSRC2:TRAP_HANDLER: 0
; COMPUTE_PGM_RSRC2:TGID_X_EN: 1
; COMPUTE_PGM_RSRC2:TGID_Y_EN: 0
; COMPUTE_PGM_RSRC2:TGID_Z_EN: 0
; COMPUTE_PGM_RSRC2:TIDIG_COMP_CNT: 0
	.type	__hip_cuid_d12062f7add05e26,@object ; @__hip_cuid_d12062f7add05e26
	.section	.bss,"aw",@nobits
	.globl	__hip_cuid_d12062f7add05e26
__hip_cuid_d12062f7add05e26:
	.byte	0                               ; 0x0
	.size	__hip_cuid_d12062f7add05e26, 1

	.ident	"AMD clang version 19.0.0git (https://github.com/RadeonOpenCompute/llvm-project roc-6.4.0 25133 c7fe45cf4b819c5991fe208aaa96edf142730f1d)"
	.section	".note.GNU-stack","",@progbits
	.addrsig
	.addrsig_sym __hip_cuid_d12062f7add05e26
	.amdgpu_metadata
---
amdhsa.kernels:
  - .args:
      - .actual_access:  read_only
        .address_space:  global
        .offset:         0
        .size:           8
        .value_kind:     global_buffer
      - .offset:         8
        .size:           8
        .value_kind:     by_value
      - .actual_access:  read_only
        .address_space:  global
        .offset:         16
        .size:           8
        .value_kind:     global_buffer
      - .actual_access:  read_only
        .address_space:  global
        .offset:         24
        .size:           8
        .value_kind:     global_buffer
      - .offset:         32
        .size:           8
        .value_kind:     by_value
      - .actual_access:  read_only
        .address_space:  global
        .offset:         40
        .size:           8
        .value_kind:     global_buffer
      - .actual_access:  read_only
        .address_space:  global
        .offset:         48
        .size:           8
        .value_kind:     global_buffer
      - .offset:         56
        .size:           4
        .value_kind:     by_value
      - .actual_access:  read_only
        .address_space:  global
        .offset:         64
        .size:           8
        .value_kind:     global_buffer
      - .actual_access:  read_only
        .address_space:  global
        .offset:         72
        .size:           8
        .value_kind:     global_buffer
      - .address_space:  global
        .offset:         80
        .size:           8
        .value_kind:     global_buffer
    .group_segment_fixed_size: 0
    .kernarg_segment_align: 8
    .kernarg_segment_size: 88
    .language:       OpenCL C
    .language_version:
      - 2
      - 0
    .max_flat_workgroup_size: 231
    .name:           fft_rtc_fwd_len847_factors_11_7_11_wgs_231_tpt_77_halfLds_dp_ip_CI_unitstride_sbrr_dirReg
    .private_segment_fixed_size: 0
    .sgpr_count:     42
    .sgpr_spill_count: 0
    .symbol:         fft_rtc_fwd_len847_factors_11_7_11_wgs_231_tpt_77_halfLds_dp_ip_CI_unitstride_sbrr_dirReg.kd
    .uniform_work_group_size: 1
    .uses_dynamic_stack: false
    .vgpr_count:     146
    .vgpr_spill_count: 0
    .wavefront_size: 64
amdhsa.target:   amdgcn-amd-amdhsa--gfx906
amdhsa.version:
  - 1
  - 2
...

	.end_amdgpu_metadata
